;; amdgpu-corpus repo=ROCm/rocFFT kind=compiled arch=gfx906 opt=O3
	.text
	.amdgcn_target "amdgcn-amd-amdhsa--gfx906"
	.amdhsa_code_object_version 6
	.protected	fft_rtc_fwd_len176_factors_11_16_wgs_64_tpt_16_halfLds_sp_op_CI_CI_unitstride_sbrr_R2C_dirReg ; -- Begin function fft_rtc_fwd_len176_factors_11_16_wgs_64_tpt_16_halfLds_sp_op_CI_CI_unitstride_sbrr_R2C_dirReg
	.globl	fft_rtc_fwd_len176_factors_11_16_wgs_64_tpt_16_halfLds_sp_op_CI_CI_unitstride_sbrr_R2C_dirReg
	.p2align	8
	.type	fft_rtc_fwd_len176_factors_11_16_wgs_64_tpt_16_halfLds_sp_op_CI_CI_unitstride_sbrr_R2C_dirReg,@function
fft_rtc_fwd_len176_factors_11_16_wgs_64_tpt_16_halfLds_sp_op_CI_CI_unitstride_sbrr_R2C_dirReg: ; @fft_rtc_fwd_len176_factors_11_16_wgs_64_tpt_16_halfLds_sp_op_CI_CI_unitstride_sbrr_R2C_dirReg
; %bb.0:
	s_load_dwordx4 s[8:11], s[4:5], 0x58
	s_load_dwordx4 s[12:15], s[4:5], 0x0
	;; [unrolled: 1-line block ×3, first 2 shown]
	v_lshrrev_b32_e32 v7, 4, v0
	v_mov_b32_e32 v3, 0
	v_mov_b32_e32 v1, 0
	s_waitcnt lgkmcnt(0)
	v_cmp_lt_u64_e64 s[0:1], s[14:15], 2
	v_lshl_or_b32 v5, s6, 2, v7
	v_mov_b32_e32 v6, v3
	s_and_b64 vcc, exec, s[0:1]
	v_mov_b32_e32 v2, 0
	s_cbranch_vccnz .LBB0_8
; %bb.1:
	s_load_dwordx2 s[0:1], s[4:5], 0x10
	s_add_u32 s2, s18, 8
	s_addc_u32 s3, s19, 0
	s_add_u32 s6, s16, 8
	v_mov_b32_e32 v1, 0
	s_addc_u32 s7, s17, 0
	v_mov_b32_e32 v2, 0
	s_waitcnt lgkmcnt(0)
	s_add_u32 s20, s0, 8
	v_mov_b32_e32 v13, v2
	s_addc_u32 s21, s1, 0
	s_mov_b64 s[22:23], 1
	v_mov_b32_e32 v12, v1
.LBB0_2:                                ; =>This Inner Loop Header: Depth=1
	s_load_dwordx2 s[24:25], s[20:21], 0x0
                                        ; implicit-def: $vgpr16_vgpr17
	s_waitcnt lgkmcnt(0)
	v_or_b32_e32 v4, s25, v6
	v_cmp_ne_u64_e32 vcc, 0, v[3:4]
	s_and_saveexec_b64 s[0:1], vcc
	s_xor_b64 s[26:27], exec, s[0:1]
	s_cbranch_execz .LBB0_4
; %bb.3:                                ;   in Loop: Header=BB0_2 Depth=1
	v_cvt_f32_u32_e32 v4, s24
	v_cvt_f32_u32_e32 v8, s25
	s_sub_u32 s0, 0, s24
	s_subb_u32 s1, 0, s25
	v_mac_f32_e32 v4, 0x4f800000, v8
	v_rcp_f32_e32 v4, v4
	v_mul_f32_e32 v4, 0x5f7ffffc, v4
	v_mul_f32_e32 v8, 0x2f800000, v4
	v_trunc_f32_e32 v8, v8
	v_mac_f32_e32 v4, 0xcf800000, v8
	v_cvt_u32_f32_e32 v8, v8
	v_cvt_u32_f32_e32 v4, v4
	v_mul_lo_u32 v9, s0, v8
	v_mul_hi_u32 v10, s0, v4
	v_mul_lo_u32 v14, s1, v4
	v_mul_lo_u32 v11, s0, v4
	v_add_u32_e32 v9, v10, v9
	v_add_u32_e32 v9, v9, v14
	v_mul_hi_u32 v10, v4, v11
	v_mul_lo_u32 v14, v4, v9
	v_mul_hi_u32 v16, v4, v9
	v_mul_hi_u32 v15, v8, v11
	v_mul_lo_u32 v11, v8, v11
	v_mul_hi_u32 v17, v8, v9
	v_add_co_u32_e32 v10, vcc, v10, v14
	v_addc_co_u32_e32 v14, vcc, 0, v16, vcc
	v_mul_lo_u32 v9, v8, v9
	v_add_co_u32_e32 v10, vcc, v10, v11
	v_addc_co_u32_e32 v10, vcc, v14, v15, vcc
	v_addc_co_u32_e32 v11, vcc, 0, v17, vcc
	v_add_co_u32_e32 v9, vcc, v10, v9
	v_addc_co_u32_e32 v10, vcc, 0, v11, vcc
	v_add_co_u32_e32 v4, vcc, v4, v9
	v_addc_co_u32_e32 v8, vcc, v8, v10, vcc
	v_mul_lo_u32 v9, s0, v8
	v_mul_hi_u32 v10, s0, v4
	v_mul_lo_u32 v11, s1, v4
	v_mul_lo_u32 v14, s0, v4
	v_add_u32_e32 v9, v10, v9
	v_add_u32_e32 v9, v9, v11
	v_mul_lo_u32 v15, v4, v9
	v_mul_hi_u32 v16, v4, v14
	v_mul_hi_u32 v17, v4, v9
	v_mul_hi_u32 v11, v8, v14
	v_mul_lo_u32 v14, v8, v14
	v_mul_hi_u32 v10, v8, v9
	v_add_co_u32_e32 v15, vcc, v16, v15
	v_addc_co_u32_e32 v16, vcc, 0, v17, vcc
	v_mul_lo_u32 v9, v8, v9
	v_add_co_u32_e32 v14, vcc, v15, v14
	v_addc_co_u32_e32 v11, vcc, v16, v11, vcc
	v_addc_co_u32_e32 v10, vcc, 0, v10, vcc
	v_add_co_u32_e32 v9, vcc, v11, v9
	v_addc_co_u32_e32 v10, vcc, 0, v10, vcc
	v_add_co_u32_e32 v4, vcc, v4, v9
	v_addc_co_u32_e32 v10, vcc, v8, v10, vcc
	v_mad_u64_u32 v[8:9], s[0:1], v5, v10, 0
	v_mul_hi_u32 v11, v5, v4
	v_add_co_u32_e32 v14, vcc, v11, v8
	v_addc_co_u32_e32 v15, vcc, 0, v9, vcc
	v_mad_u64_u32 v[8:9], s[0:1], v6, v4, 0
	v_mad_u64_u32 v[10:11], s[0:1], v6, v10, 0
	v_add_co_u32_e32 v4, vcc, v14, v8
	v_addc_co_u32_e32 v4, vcc, v15, v9, vcc
	v_addc_co_u32_e32 v8, vcc, 0, v11, vcc
	v_add_co_u32_e32 v4, vcc, v4, v10
	v_addc_co_u32_e32 v10, vcc, 0, v8, vcc
	v_mul_lo_u32 v11, s25, v4
	v_mul_lo_u32 v14, s24, v10
	v_mad_u64_u32 v[8:9], s[0:1], s24, v4, 0
	v_add3_u32 v9, v9, v14, v11
	v_sub_u32_e32 v11, v6, v9
	v_mov_b32_e32 v14, s25
	v_sub_co_u32_e32 v8, vcc, v5, v8
	v_subb_co_u32_e64 v11, s[0:1], v11, v14, vcc
	v_subrev_co_u32_e64 v14, s[0:1], s24, v8
	v_subbrev_co_u32_e64 v11, s[0:1], 0, v11, s[0:1]
	v_cmp_le_u32_e64 s[0:1], s25, v11
	v_cndmask_b32_e64 v15, 0, -1, s[0:1]
	v_cmp_le_u32_e64 s[0:1], s24, v14
	v_cndmask_b32_e64 v14, 0, -1, s[0:1]
	v_cmp_eq_u32_e64 s[0:1], s25, v11
	v_cndmask_b32_e64 v11, v15, v14, s[0:1]
	v_add_co_u32_e64 v14, s[0:1], 2, v4
	v_addc_co_u32_e64 v15, s[0:1], 0, v10, s[0:1]
	v_add_co_u32_e64 v16, s[0:1], 1, v4
	v_addc_co_u32_e64 v17, s[0:1], 0, v10, s[0:1]
	v_subb_co_u32_e32 v9, vcc, v6, v9, vcc
	v_cmp_ne_u32_e64 s[0:1], 0, v11
	v_cmp_le_u32_e32 vcc, s25, v9
	v_cndmask_b32_e64 v11, v17, v15, s[0:1]
	v_cndmask_b32_e64 v15, 0, -1, vcc
	v_cmp_le_u32_e32 vcc, s24, v8
	v_cndmask_b32_e64 v8, 0, -1, vcc
	v_cmp_eq_u32_e32 vcc, s25, v9
	v_cndmask_b32_e32 v8, v15, v8, vcc
	v_cmp_ne_u32_e32 vcc, 0, v8
	v_cndmask_b32_e64 v8, v16, v14, s[0:1]
	v_cndmask_b32_e32 v17, v10, v11, vcc
	v_cndmask_b32_e32 v16, v4, v8, vcc
.LBB0_4:                                ;   in Loop: Header=BB0_2 Depth=1
	s_andn2_saveexec_b64 s[0:1], s[26:27]
	s_cbranch_execz .LBB0_6
; %bb.5:                                ;   in Loop: Header=BB0_2 Depth=1
	v_cvt_f32_u32_e32 v4, s24
	s_sub_i32 s26, 0, s24
	v_mov_b32_e32 v17, v3
	v_rcp_iflag_f32_e32 v4, v4
	v_mul_f32_e32 v4, 0x4f7ffffe, v4
	v_cvt_u32_f32_e32 v4, v4
	v_mul_lo_u32 v8, s26, v4
	v_mul_hi_u32 v8, v4, v8
	v_add_u32_e32 v4, v4, v8
	v_mul_hi_u32 v4, v5, v4
	v_mul_lo_u32 v8, v4, s24
	v_add_u32_e32 v9, 1, v4
	v_sub_u32_e32 v8, v5, v8
	v_subrev_u32_e32 v10, s24, v8
	v_cmp_le_u32_e32 vcc, s24, v8
	v_cndmask_b32_e32 v8, v8, v10, vcc
	v_cndmask_b32_e32 v4, v4, v9, vcc
	v_add_u32_e32 v9, 1, v4
	v_cmp_le_u32_e32 vcc, s24, v8
	v_cndmask_b32_e32 v16, v4, v9, vcc
.LBB0_6:                                ;   in Loop: Header=BB0_2 Depth=1
	s_or_b64 exec, exec, s[0:1]
	v_mul_lo_u32 v4, v17, s24
	v_mul_lo_u32 v10, v16, s25
	v_mad_u64_u32 v[8:9], s[0:1], v16, s24, 0
	s_load_dwordx2 s[0:1], s[6:7], 0x0
	s_load_dwordx2 s[24:25], s[2:3], 0x0
	v_add3_u32 v4, v9, v10, v4
	v_sub_co_u32_e32 v5, vcc, v5, v8
	v_subb_co_u32_e32 v4, vcc, v6, v4, vcc
	s_waitcnt lgkmcnt(0)
	v_mul_lo_u32 v6, s0, v4
	v_mul_lo_u32 v8, s1, v5
	v_mad_u64_u32 v[1:2], s[0:1], s0, v5, v[1:2]
	v_mul_lo_u32 v4, s24, v4
	v_mul_lo_u32 v9, s25, v5
	v_mad_u64_u32 v[12:13], s[0:1], s24, v5, v[12:13]
	s_add_u32 s22, s22, 1
	s_addc_u32 s23, s23, 0
	s_add_u32 s2, s2, 8
	v_add3_u32 v13, v9, v13, v4
	s_addc_u32 s3, s3, 0
	v_mov_b32_e32 v4, s14
	s_add_u32 s6, s6, 8
	v_mov_b32_e32 v5, s15
	s_addc_u32 s7, s7, 0
	v_cmp_ge_u64_e32 vcc, s[22:23], v[4:5]
	s_add_u32 s20, s20, 8
	v_add3_u32 v2, v8, v2, v6
	s_addc_u32 s21, s21, 0
	s_cbranch_vccnz .LBB0_9
; %bb.7:                                ;   in Loop: Header=BB0_2 Depth=1
	v_mov_b32_e32 v5, v16
	v_mov_b32_e32 v6, v17
	s_branch .LBB0_2
.LBB0_8:
	v_mov_b32_e32 v13, v2
	v_mov_b32_e32 v17, v6
	;; [unrolled: 1-line block ×4, first 2 shown]
.LBB0_9:
	s_load_dwordx2 s[0:1], s[4:5], 0x28
	s_lshl_b64 s[6:7], s[14:15], 3
	s_add_u32 s2, s18, s6
	s_addc_u32 s3, s19, s7
	v_and_b32_e32 v14, 15, v0
	s_waitcnt lgkmcnt(0)
	v_cmp_gt_u64_e32 vcc, s[0:1], v[16:17]
	v_cmp_le_u64_e64 s[0:1], s[0:1], v[16:17]
	s_and_saveexec_b64 s[4:5], s[0:1]
	s_xor_b64 s[0:1], exec, s[4:5]
; %bb.10:
	v_and_b32_e32 v14, 15, v0
                                        ; implicit-def: $vgpr1_vgpr2
; %bb.11:
	s_or_saveexec_b64 s[4:5], s[0:1]
	v_mul_u32_u24_e32 v0, 0xb1, v7
	v_lshlrev_b32_e32 v0, 3, v0
	s_xor_b64 exec, exec, s[4:5]
	s_cbranch_execz .LBB0_13
; %bb.12:
	s_add_u32 s0, s16, s6
	s_addc_u32 s1, s17, s7
	s_load_dwordx2 s[0:1], s[0:1], 0x0
	v_mov_b32_e32 v7, s9
	v_lshlrev_b64 v[1:2], 3, v[1:2]
	v_lshlrev_b32_e32 v11, 3, v14
	s_waitcnt lgkmcnt(0)
	v_mul_lo_u32 v5, s1, v16
	v_mul_lo_u32 v6, s0, v17
	v_mad_u64_u32 v[3:4], s[0:1], s0, v16, 0
	v_add3_u32 v4, v4, v6, v5
	v_lshlrev_b64 v[3:4], 3, v[3:4]
	v_add_co_u32_e64 v3, s[0:1], s8, v3
	v_addc_co_u32_e64 v4, s[0:1], v7, v4, s[0:1]
	v_add_co_u32_e64 v1, s[0:1], v3, v1
	v_addc_co_u32_e64 v2, s[0:1], v4, v2, s[0:1]
	;; [unrolled: 2-line block ×3, first 2 shown]
	global_load_dwordx2 v[3:4], v[1:2], off
	global_load_dwordx2 v[5:6], v[1:2], off offset:128
	global_load_dwordx2 v[7:8], v[1:2], off offset:256
	;; [unrolled: 1-line block ×10, first 2 shown]
	v_add3_u32 v1, 0, v0, v11
	s_waitcnt vmcnt(9)
	ds_write2_b64 v1, v[3:4], v[5:6] offset1:16
	s_waitcnt vmcnt(7)
	ds_write2_b64 v1, v[7:8], v[9:10] offset0:32 offset1:48
	s_waitcnt vmcnt(5)
	ds_write2_b64 v1, v[18:19], v[20:21] offset0:64 offset1:80
	;; [unrolled: 2-line block ×4, first 2 shown]
	s_waitcnt vmcnt(0)
	ds_write_b64 v1, v[30:31] offset:1280
.LBB0_13:
	s_or_b64 exec, exec, s[4:5]
	v_add_u32_e32 v38, 0, v0
	v_lshlrev_b32_e32 v15, 3, v14
	v_add_u32_e32 v39, v38, v15
	s_load_dwordx2 s[2:3], s[2:3], 0x0
	s_waitcnt lgkmcnt(0)
	; wave barrier
	s_waitcnt lgkmcnt(0)
	ds_read_b64 v[24:25], v39
	v_add3_u32 v40, 0, v15, v0
	ds_read2_b64 v[0:3], v40 offset0:16 offset1:32
	ds_read2_b64 v[4:7], v40 offset0:48 offset1:64
	;; [unrolled: 1-line block ×3, first 2 shown]
	s_mov_b32 s4, 0x3f575c64
	s_mov_b32 s1, 0x3ed4b147
	s_waitcnt lgkmcnt(2)
	v_add_f32_e32 v8, v24, v0
	v_add_f32_e32 v9, v25, v1
	;; [unrolled: 1-line block ×4, first 2 shown]
	ds_read2_b64 v[8:11], v40 offset0:112 offset1:128
	s_waitcnt lgkmcnt(2)
	v_add_f32_e32 v18, v18, v4
	v_add_f32_e32 v19, v19, v5
	;; [unrolled: 1-line block ×4, first 2 shown]
	s_waitcnt lgkmcnt(0)
	v_add_f32_e32 v34, v10, v4
	v_add_f32_e32 v35, v11, v5
	v_sub_f32_e32 v32, v4, v10
	v_sub_f32_e32 v33, v5, v11
	v_add_f32_e32 v4, v18, v20
	v_add_f32_e32 v5, v19, v21
	v_add_f32_e32 v36, v8, v6
	v_add_f32_e32 v37, v9, v7
	v_sub_f32_e32 v41, v6, v8
	v_sub_f32_e32 v42, v7, v9
	v_add_f32_e32 v18, v4, v22
	v_add_f32_e32 v19, v5, v23
	ds_read2_b64 v[4:7], v40 offset0:144 offset1:160
	v_add_f32_e32 v8, v18, v8
	v_add_f32_e32 v9, v19, v9
	;; [unrolled: 1-line block ×4, first 2 shown]
	s_waitcnt lgkmcnt(0)
	v_add_f32_e32 v11, v7, v1
	v_sub_f32_e32 v1, v1, v7
	v_add_f32_e32 v43, v4, v2
	v_sub_f32_e32 v45, v2, v4
	v_add_f32_e32 v2, v8, v4
	v_add_f32_e32 v10, v6, v0
	v_sub_f32_e32 v0, v0, v6
	v_add_f32_e32 v44, v5, v3
	v_sub_f32_e32 v46, v3, v5
	v_add_f32_e32 v3, v9, v5
	v_add_f32_e32 v18, v2, v6
	;; [unrolled: 1-line block ×3, first 2 shown]
	v_sub_f32_e32 v6, v20, v22
	v_mul_f32_e32 v2, 0xbf0a6770, v1
	v_mul_f32_e32 v8, 0xbf68dda4, v1
	s_mov_b32 s0, 0xbe11bafb
	v_mul_f32_e32 v20, 0xbf7d64f0, v1
	s_mov_b32 s5, 0xbf27a4f4
	v_mul_f32_e32 v22, 0xbf4178ce, v1
	v_mul_f32_e32 v1, 0xbe903f40, v1
	s_mov_b32 s6, 0xbf75a155
	v_add_f32_e32 v19, v3, v7
	v_add_f32_e32 v5, v23, v21
	v_sub_f32_e32 v7, v21, v23
	v_fma_f32 v3, v10, s4, -v2
	v_fmac_f32_e32 v2, 0x3f575c64, v10
	v_fma_f32 v9, v10, s1, -v8
	v_fmac_f32_e32 v8, 0x3ed4b147, v10
	;; [unrolled: 2-line block ×5, first 2 shown]
	v_mul_f32_e32 v10, 0xbf0a6770, v0
	v_mul_f32_e32 v28, 0xbf68dda4, v0
	;; [unrolled: 1-line block ×5, first 2 shown]
	v_mov_b32_e32 v49, v0
	v_fma_f32 v0, v11, s6, -v0
	v_add_f32_e32 v55, v25, v0
	v_mul_f32_e32 v0, 0xbf68dda4, v46
	v_add_f32_e32 v3, v24, v3
	v_add_f32_e32 v54, v24, v1
	v_fma_f32 v1, v43, s1, -v0
	v_mov_b32_e32 v27, v10
	v_add_f32_e32 v1, v1, v3
	v_mul_f32_e32 v3, 0xbf68dda4, v45
	v_fmac_f32_e32 v27, 0x3f575c64, v11
	v_mov_b32_e32 v29, v28
	v_mov_b32_e32 v31, v30
	;; [unrolled: 1-line block ×3, first 2 shown]
	v_add_f32_e32 v50, v24, v20
	v_mov_b32_e32 v20, v3
	v_fma_f32 v10, v11, s4, -v10
	v_fmac_f32_e32 v29, 0x3ed4b147, v11
	v_fma_f32 v28, v11, s1, -v28
	v_fmac_f32_e32 v31, 0xbe11bafb, v11
	;; [unrolled: 2-line block ×4, first 2 shown]
	v_add_f32_e32 v11, v25, v27
	v_add_f32_e32 v52, v24, v22
	v_fmac_f32_e32 v20, 0x3ed4b147, v44
	v_mul_f32_e32 v22, 0xbf7d64f0, v33
	v_add_f32_e32 v51, v24, v23
	v_add_f32_e32 v11, v20, v11
	v_fma_f32 v20, v34, s0, -v22
	v_mul_f32_e32 v23, 0xbf7d64f0, v32
	v_add_f32_e32 v1, v20, v1
	v_mov_b32_e32 v20, v23
	v_add_f32_e32 v2, v24, v2
	v_add_f32_e32 v9, v24, v9
	;; [unrolled: 1-line block ×6, first 2 shown]
	v_fmac_f32_e32 v20, 0xbe11bafb, v35
	v_mul_f32_e32 v24, 0xbf4178ce, v42
	v_add_f32_e32 v10, v25, v10
	v_add_f32_e32 v28, v25, v28
	;; [unrolled: 1-line block ×8, first 2 shown]
	v_fma_f32 v20, v36, s5, -v24
	v_mul_f32_e32 v25, 0xbf4178ce, v41
	v_add_f32_e32 v1, v20, v1
	v_mov_b32_e32 v20, v25
	v_fmac_f32_e32 v20, 0xbf27a4f4, v37
	v_mul_f32_e32 v26, 0xbe903f40, v7
	v_fmac_f32_e32 v0, 0x3ed4b147, v43
	v_add_f32_e32 v11, v20, v11
	v_fma_f32 v20, v4, s6, -v26
	v_add_f32_e32 v0, v0, v2
	v_fma_f32 v2, v44, s1, -v3
	v_fmac_f32_e32 v22, 0xbe11bafb, v34
	v_add_f32_e32 v20, v20, v1
	v_mul_f32_e32 v1, 0xbe903f40, v6
	v_add_f32_e32 v2, v2, v10
	v_add_f32_e32 v0, v22, v0
	v_fma_f32 v3, v35, s0, -v23
	v_fmac_f32_e32 v24, 0xbf27a4f4, v36
	v_mov_b32_e32 v21, v1
	v_add_f32_e32 v2, v3, v2
	v_add_f32_e32 v0, v24, v0
	v_fma_f32 v3, v37, s5, -v25
	v_fmac_f32_e32 v26, 0xbf75a155, v4
	v_fmac_f32_e32 v21, 0xbf75a155, v5
	v_add_f32_e32 v3, v3, v2
	v_fma_f32 v1, v5, s6, -v1
	v_add_f32_e32 v2, v26, v0
	v_mul_f32_e32 v0, 0xbf4178ce, v46
	v_add_f32_e32 v21, v21, v11
	v_add_f32_e32 v3, v1, v3
	v_fma_f32 v1, v43, s5, -v0
	v_mul_f32_e32 v11, 0x3e903f40, v33
	v_add_f32_e32 v1, v1, v9
	v_mul_f32_e32 v9, 0xbf4178ce, v45
	v_fma_f32 v22, v34, s6, -v11
	v_mov_b32_e32 v10, v9
	v_add_f32_e32 v1, v22, v1
	v_mul_f32_e32 v22, 0x3e903f40, v32
	v_fmac_f32_e32 v10, 0xbf27a4f4, v44
	v_mov_b32_e32 v23, v22
	v_add_f32_e32 v10, v10, v27
	v_fmac_f32_e32 v23, 0xbf75a155, v35
	v_add_f32_e32 v10, v23, v10
	v_mul_f32_e32 v23, 0x3f7d64f0, v42
	v_fma_f32 v24, v36, s0, -v23
	v_mul_f32_e32 v26, 0x3f7d64f0, v41
	v_add_f32_e32 v1, v24, v1
	v_mov_b32_e32 v24, v26
	v_fmac_f32_e32 v0, 0xbf27a4f4, v43
	v_fmac_f32_e32 v24, 0xbe11bafb, v37
	v_mul_f32_e32 v27, 0x3f0a6770, v7
	v_add_f32_e32 v0, v0, v8
	v_fma_f32 v8, v44, s5, -v9
	v_add_f32_e32 v10, v24, v10
	v_fma_f32 v24, v4, s4, -v27
	;; [unrolled: 2-line block ×3, first 2 shown]
	v_add_f32_e32 v24, v24, v1
	v_mul_f32_e32 v1, 0x3f0a6770, v6
	v_add_f32_e32 v8, v9, v8
	v_fma_f32 v9, v37, s0, -v26
	v_mov_b32_e32 v25, v1
	v_add_f32_e32 v8, v9, v8
	v_fma_f32 v1, v5, s4, -v1
	v_fmac_f32_e32 v11, 0xbf75a155, v34
	v_add_f32_e32 v1, v1, v8
	v_mul_f32_e32 v8, 0x3e903f40, v46
	v_fmac_f32_e32 v25, 0x3f575c64, v5
	v_add_f32_e32 v0, v11, v0
	v_fmac_f32_e32 v23, 0xbe11bafb, v36
	v_fma_f32 v9, v43, s6, -v8
	v_mul_f32_e32 v22, 0x3f68dda4, v33
	v_add_f32_e32 v25, v25, v10
	v_add_f32_e32 v0, v23, v0
	;; [unrolled: 1-line block ×3, first 2 shown]
	v_mul_f32_e32 v10, 0x3e903f40, v45
	v_fma_f32 v23, v34, s1, -v22
	v_mov_b32_e32 v11, v10
	v_add_f32_e32 v9, v23, v9
	v_mul_f32_e32 v23, 0x3f68dda4, v32
	v_fmac_f32_e32 v11, 0xbf75a155, v44
	v_mov_b32_e32 v26, v23
	v_add_f32_e32 v11, v11, v31
	v_fmac_f32_e32 v26, 0x3ed4b147, v35
	v_fmac_f32_e32 v27, 0x3f575c64, v4
	v_add_f32_e32 v11, v26, v11
	v_mul_f32_e32 v26, 0xbf0a6770, v42
	v_add_f32_e32 v0, v27, v0
	v_fma_f32 v27, v36, s4, -v26
	v_add_f32_e32 v9, v27, v9
	v_mul_f32_e32 v27, 0xbf0a6770, v41
	v_mov_b32_e32 v28, v27
	v_fmac_f32_e32 v28, 0x3f575c64, v37
	v_mul_f32_e32 v31, 0xbf4178ce, v7
	v_add_f32_e32 v11, v28, v11
	v_fma_f32 v28, v4, s5, -v31
	v_add_f32_e32 v28, v28, v9
	v_mul_f32_e32 v9, 0xbf4178ce, v6
	v_mov_b32_e32 v29, v9
	v_fmac_f32_e32 v8, 0xbf75a155, v43
	v_fmac_f32_e32 v29, 0xbf27a4f4, v5
	v_add_f32_e32 v8, v8, v50
	v_fma_f32 v10, v44, s6, -v10
	v_fmac_f32_e32 v22, 0x3ed4b147, v34
	v_add_f32_e32 v29, v29, v11
	v_add_f32_e32 v10, v10, v30
	;; [unrolled: 1-line block ×3, first 2 shown]
	v_fma_f32 v11, v35, s1, -v23
	v_fmac_f32_e32 v26, 0x3f575c64, v36
	v_add_f32_e32 v10, v11, v10
	v_add_f32_e32 v8, v26, v8
	v_fma_f32 v11, v37, s4, -v27
	v_fmac_f32_e32 v31, 0xbf27a4f4, v4
	v_add_f32_e32 v10, v11, v10
	v_add_f32_e32 v22, v31, v8
	v_fma_f32 v8, v5, s5, -v9
	v_add_f32_e32 v23, v8, v10
	v_mul_f32_e32 v8, 0x3f7d64f0, v46
	v_fma_f32 v9, v43, s0, -v8
	v_mul_f32_e32 v10, 0x3f7d64f0, v45
	v_mul_f32_e32 v30, 0xbf0a6770, v33
	v_add_f32_e32 v9, v9, v51
	v_mov_b32_e32 v11, v10
	v_fma_f32 v26, v34, s4, -v30
	v_mul_f32_e32 v31, 0xbf0a6770, v32
	v_fmac_f32_e32 v11, 0xbe11bafb, v44
	v_add_f32_e32 v9, v26, v9
	v_mov_b32_e32 v26, v31
	v_add_f32_e32 v11, v11, v48
	v_fmac_f32_e32 v26, 0x3f575c64, v35
	v_mul_f32_e32 v48, 0xbe903f40, v42
	v_add_f32_e32 v11, v26, v11
	v_fma_f32 v26, v36, s6, -v48
	v_mul_f32_e32 v50, 0xbe903f40, v41
	v_add_f32_e32 v9, v26, v9
	v_mov_b32_e32 v26, v50
	v_fmac_f32_e32 v26, 0xbf75a155, v37
	v_mul_f32_e32 v51, 0x3f68dda4, v7
	v_add_f32_e32 v11, v26, v11
	v_fma_f32 v26, v4, s1, -v51
	v_add_f32_e32 v26, v26, v9
	v_mul_f32_e32 v9, 0x3f68dda4, v6
	v_mov_b32_e32 v27, v9
	v_fmac_f32_e32 v8, 0xbe11bafb, v43
	v_fmac_f32_e32 v27, 0x3ed4b147, v5
	v_add_f32_e32 v8, v8, v52
	v_fma_f32 v10, v44, s0, -v10
	v_fmac_f32_e32 v30, 0x3f575c64, v34
	v_add_f32_e32 v27, v27, v11
	v_add_f32_e32 v10, v10, v47
	v_add_f32_e32 v8, v30, v8
	v_fma_f32 v11, v35, s4, -v31
	v_fmac_f32_e32 v48, 0xbf75a155, v36
	v_add_f32_e32 v10, v11, v10
	v_add_f32_e32 v8, v48, v8
	v_fma_f32 v11, v37, s6, -v50
	v_fmac_f32_e32 v51, 0x3ed4b147, v4
	v_add_f32_e32 v10, v11, v10
	v_add_f32_e32 v30, v51, v8
	v_fma_f32 v8, v5, s1, -v9
	v_add_f32_e32 v31, v8, v10
	v_mul_f32_e32 v10, 0x3f0a6770, v45
	v_mul_f32_e32 v8, 0x3f0a6770, v46
	v_mov_b32_e32 v11, v10
	v_mul_f32_e32 v46, 0xbf4178ce, v32
	v_fma_f32 v9, v43, s4, -v8
	v_fmac_f32_e32 v11, 0x3f575c64, v44
	v_mul_f32_e32 v45, 0xbf4178ce, v33
	v_mov_b32_e32 v32, v46
	v_add_f32_e32 v9, v9, v53
	v_add_f32_e32 v11, v11, v49
	v_fma_f32 v33, v34, s5, -v45
	v_fmac_f32_e32 v32, 0xbf27a4f4, v35
	v_mul_f32_e32 v42, 0x3f68dda4, v42
	v_add_f32_e32 v9, v33, v9
	v_add_f32_e32 v11, v32, v11
	v_fma_f32 v32, v36, s1, -v42
	v_mul_f32_e32 v41, 0x3f68dda4, v41
	v_add_f32_e32 v9, v32, v9
	v_mov_b32_e32 v32, v41
	v_fmac_f32_e32 v32, 0x3ed4b147, v37
	v_mul_f32_e32 v7, 0xbf7d64f0, v7
	v_add_f32_e32 v11, v32, v11
	v_fma_f32 v32, v4, s0, -v7
	v_mul_f32_e32 v6, 0xbf7d64f0, v6
	v_add_f32_e32 v32, v32, v9
	v_mov_b32_e32 v9, v6
	v_fmac_f32_e32 v9, 0xbe11bafb, v5
	v_add_f32_e32 v33, v9, v11
	v_fmac_f32_e32 v8, 0x3f575c64, v43
	v_fma_f32 v9, v44, s4, -v10
	v_add_f32_e32 v8, v8, v54
	v_add_f32_e32 v9, v9, v55
	v_fmac_f32_e32 v45, 0xbf27a4f4, v34
	v_fma_f32 v10, v35, s5, -v46
	v_add_f32_e32 v8, v45, v8
	;; [unrolled: 4-line block ×3, first 2 shown]
	v_add_f32_e32 v9, v10, v9
	v_fmac_f32_e32 v7, 0xbe11bafb, v4
	v_fma_f32 v4, v5, s0, -v6
	s_movk_i32 s0, 0x50
	v_add_f32_e32 v36, v7, v8
	v_add_f32_e32 v37, v4, v9
	v_mad_u32_u24 v4, v14, s0, v40
	v_cmp_gt_u32_e64 s[0:1], 11, v14
	s_waitcnt lgkmcnt(0)
	; wave barrier
	ds_write2_b64 v4, v[18:19], v[20:21] offset1:1
	ds_write2_b64 v4, v[24:25], v[28:29] offset0:2 offset1:3
	ds_write2_b64 v4, v[26:27], v[32:33] offset0:4 offset1:5
	;; [unrolled: 1-line block ×4, first 2 shown]
	ds_write_b64 v4, v[2:3] offset:80
	s_waitcnt lgkmcnt(0)
	; wave barrier
	s_waitcnt lgkmcnt(0)
                                        ; implicit-def: $vgpr35
                                        ; implicit-def: $vgpr5
                                        ; implicit-def: $vgpr9
	s_and_saveexec_b64 s[4:5], s[0:1]
	s_cbranch_execz .LBB0_15
; %bb.14:
	ds_read2_b64 v[41:44], v40 offset0:11 offset1:22
	ds_read2_b64 v[24:27], v40 offset0:33 offset1:44
	;; [unrolled: 1-line block ×7, first 2 shown]
	ds_read_b64 v[18:19], v39
	ds_read_b64 v[34:35], v40 offset:1320
	s_waitcnt lgkmcnt(5)
	v_mov_b32_e32 v31, v21
	v_mov_b32_e32 v30, v20
	;; [unrolled: 1-line block ×12, first 2 shown]
.LBB0_15:
	s_or_b64 exec, exec, s[4:5]
	s_waitcnt lgkmcnt(0)
	; wave barrier
	s_waitcnt lgkmcnt(0)
	s_and_saveexec_b64 s[4:5], s[0:1]
	s_cbranch_execz .LBB0_17
; %bb.16:
	v_add_u32_e32 v41, -11, v14
	v_cndmask_b32_e64 v41, v41, v14, s[0:1]
	v_mul_i32_i24_e32 v41, 15, v41
	v_mov_b32_e32 v42, 0
	v_lshlrev_b64 v[41:42], 3, v[41:42]
	v_mov_b32_e32 v43, s13
	v_add_co_u32_e64 v53, s[0:1], s12, v41
	v_addc_co_u32_e64 v54, s[0:1], v43, v42, s[0:1]
	global_load_dwordx4 v[41:44], v[53:54], off offset:96
	global_load_dwordx4 v[45:48], v[53:54], off offset:32
	global_load_dwordx4 v[49:52], v[53:54], off
	global_load_dwordx2 v[55:56], v[53:54], off offset:112
	s_waitcnt vmcnt(3)
	v_mul_f32_e32 v57, v10, v44
	s_waitcnt vmcnt(2)
	v_mul_f32_e32 v61, v36, v48
	v_mul_f32_e32 v44, v11, v44
	v_mul_f32_e32 v58, v8, v42
	v_mul_f32_e32 v42, v9, v42
	v_mul_f32_e32 v48, v37, v48
	v_fmac_f32_e32 v61, v37, v47
	v_mul_f32_e32 v37, v32, v46
	v_mul_f32_e32 v46, v33, v46
	v_fmac_f32_e32 v57, v11, v43
	v_fma_f32 v59, v10, v43, -v44
	v_fmac_f32_e32 v58, v9, v41
	v_fma_f32 v60, v8, v41, -v42
	global_load_dwordx4 v[8:11], v[53:54], off offset:48
	global_load_dwordx4 v[41:44], v[53:54], off offset:16
	v_fma_f32 v36, v36, v47, -v48
	v_fmac_f32_e32 v37, v33, v45
	v_fma_f32 v32, v32, v45, -v46
	global_load_dwordx4 v[45:48], v[53:54], off offset:64
	s_waitcnt vmcnt(4)
	v_mul_f32_e32 v33, v25, v52
	v_mul_f32_e32 v62, v24, v52
	;; [unrolled: 1-line block ×4, first 2 shown]
	v_fma_f32 v24, v24, v51, -v33
	v_fmac_f32_e32 v62, v25, v51
	v_fma_f32 v20, v20, v49, -v52
	v_fmac_f32_e32 v63, v21, v49
	global_load_dwordx4 v[49:52], v[53:54], off offset:80
	s_waitcnt vmcnt(4)
	v_mul_f32_e32 v53, v35, v56
	s_waitcnt vmcnt(2)
	v_mul_f32_e32 v33, v27, v44
	;; [unrolled: 2-line block ×3, first 2 shown]
	v_mul_f32_e32 v25, v2, v48
	v_fma_f32 v2, v2, v47, -v21
	v_fmac_f32_e32 v25, v3, v47
	v_mul_f32_e32 v47, v34, v56
	v_fma_f32 v34, v34, v55, -v53
	v_mul_f32_e32 v53, v30, v9
	v_mul_f32_e32 v54, v1, v46
	;; [unrolled: 1-line block ×4, first 2 shown]
	v_fmac_f32_e32 v53, v31, v8
	v_fma_f32 v8, v30, v8, -v9
	v_mul_f32_e32 v9, v28, v42
	v_mul_f32_e32 v30, v0, v46
	v_fma_f32 v0, v0, v45, -v54
	v_mul_f32_e32 v3, v22, v11
	v_fmac_f32_e32 v47, v35, v55
	s_waitcnt vmcnt(0)
	v_mul_f32_e32 v35, v5, v50
	v_fma_f32 v21, v28, v41, -v21
	v_fmac_f32_e32 v9, v29, v41
	v_fmac_f32_e32 v30, v1, v45
	v_sub_f32_e32 v41, v20, v0
	v_mul_f32_e32 v0, v4, v50
	v_mul_f32_e32 v11, v23, v11
	v_fmac_f32_e32 v3, v23, v10
	v_fma_f32 v23, v4, v49, -v35
	v_fmac_f32_e32 v0, v5, v49
	v_sub_f32_e32 v4, v32, v60
	v_sub_f32_e32 v30, v63, v30
	v_mul_f32_e32 v48, v7, v52
	v_fma_f32 v10, v22, v10, -v11
	v_sub_f32_e32 v22, v61, v57
	v_sub_f32_e32 v35, v53, v47
	;; [unrolled: 1-line block ×3, first 2 shown]
	v_add_f32_e32 v57, v30, v4
	v_fma_f32 v20, v20, 2.0, -v41
	v_fma_f32 v4, v32, 2.0, -v4
	v_fma_f32 v28, v26, v43, -v33
	v_fma_f32 v29, v6, v51, -v48
	v_sub_f32_e32 v23, v21, v23
	v_sub_f32_e32 v34, v8, v34
	v_mul_f32_e32 v5, v26, v44
	v_sub_f32_e32 v32, v20, v4
	v_fma_f32 v44, v9, 2.0, -v49
	v_fma_f32 v4, v53, 2.0, -v35
	v_sub_f32_e32 v29, v28, v29
	v_sub_f32_e32 v33, v19, v3
	;; [unrolled: 1-line block ×4, first 2 shown]
	v_mul_f32_e32 v0, v6, v52
	v_sub_f32_e32 v35, v44, v4
	v_fma_f32 v21, v21, 2.0, -v23
	v_fma_f32 v4, v8, 2.0, -v34
	v_sub_f32_e32 v31, v36, v59
	v_sub_f32_e32 v25, v62, v25
	v_add_f32_e32 v47, v33, v29
	v_add_f32_e32 v50, v49, v34
	v_fmac_f32_e32 v5, v27, v43
	v_sub_f32_e32 v10, v18, v10
	v_fmac_f32_e32 v0, v7, v51
	v_sub_f32_e32 v34, v21, v4
	v_fma_f32 v52, v63, 2.0, -v30
	v_fma_f32 v4, v37, 2.0, -v42
	v_sub_f32_e32 v11, v24, v2
	v_add_f32_e32 v46, v25, v31
	v_mov_b32_e32 v55, v47
	v_sub_f32_e32 v6, v5, v0
	v_sub_f32_e32 v37, v52, v4
	v_fma_f32 v18, v18, 2.0, -v10
	v_fma_f32 v4, v28, 2.0, -v29
	v_sub_f32_e32 v45, v11, v22
	v_sub_f32_e32 v54, v41, v42
	v_fmac_f32_e32 v55, 0x3f3504f3, v46
	v_mov_b32_e32 v58, v57
	v_fma_f32 v19, v19, 2.0, -v33
	v_fma_f32 v5, v5, 2.0, -v6
	v_sub_f32_e32 v28, v18, v4
	v_fma_f32 v29, v62, 2.0, -v25
	v_fma_f32 v4, v61, 2.0, -v22
	v_mov_b32_e32 v56, v54
	v_fmac_f32_e32 v55, 0x3f3504f3, v45
	v_fmac_f32_e32 v58, 0x3f3504f3, v50
	v_sub_f32_e32 v26, v10, v6
	v_fma_f32 v7, v36, 2.0, -v31
	v_sub_f32_e32 v36, v19, v5
	v_sub_f32_e32 v22, v29, v4
	v_fmac_f32_e32 v56, 0x3f3504f3, v48
	v_fmac_f32_e32 v58, 0x3f3504f3, v48
	v_mov_b32_e32 v27, v26
	v_fma_f32 v24, v24, 2.0, -v11
	v_sub_f32_e32 v53, v28, v22
	v_fma_f32 v59, v19, 2.0, -v36
	v_fma_f32 v19, v29, 2.0, -v22
	;; [unrolled: 1-line block ×3, first 2 shown]
	v_fmac_f32_e32 v56, 0xbf3504f3, v50
	v_fmac_f32_e32 v27, 0x3f3504f3, v45
	v_sub_f32_e32 v31, v24, v7
	v_fma_f32 v8, v11, 2.0, -v45
	v_fma_f32 v9, v23, 2.0, -v48
	v_fma_f32 v11, v49, 2.0, -v50
	v_fma_f32 v49, v10, 2.0, -v26
	v_fma_f32 v29, v57, 2.0, -v58
	v_mov_b32_e32 v23, v22
	v_fmac_f32_e32 v27, 0xbf3504f3, v46
	v_fma_f32 v33, v33, 2.0, -v47
	v_mov_b32_e32 v50, v49
	v_fma_f32 v62, v18, 2.0, -v28
	v_fma_f32 v18, v24, 2.0, -v31
	;; [unrolled: 1-line block ×3, first 2 shown]
	v_fmac_f32_e32 v23, 0xbec3ef15, v29
	v_fma_f32 v25, v25, 2.0, -v46
	v_mov_b32_e32 v45, v33
	v_fmac_f32_e32 v50, 0xbf3504f3, v8
	v_fmac_f32_e32 v23, 0x3f6c835e, v24
	v_fma_f32 v26, v26, 2.0, -v27
	v_fmac_f32_e32 v45, 0xbf3504f3, v25
	v_fmac_f32_e32 v50, 0xbf3504f3, v25
	v_fma_f32 v25, v22, 2.0, -v23
	v_mov_b32_e32 v22, v26
	v_mov_b32_e32 v0, v27
	v_fmac_f32_e32 v22, 0xbec3ef15, v24
	v_fmac_f32_e32 v0, 0x3f6c835e, v56
	v_add_f32_e32 v43, v36, v31
	v_fmac_f32_e32 v22, 0xbf6c835e, v29
	v_fmac_f32_e32 v0, 0xbec3ef15, v58
	v_sub_f32_e32 v51, v32, v35
	v_add_f32_e32 v42, v37, v34
	v_fma_f32 v24, v26, 2.0, -v22
	v_fma_f32 v26, v36, 2.0, -v43
	v_fma_f32 v2, v27, 2.0, -v0
	v_fma_f32 v61, v20, 2.0, -v32
	v_fma_f32 v31, v32, 2.0, -v51
	v_fma_f32 v32, v37, 2.0, -v42
	v_mov_b32_e32 v27, v26
	v_fmac_f32_e32 v27, 0xbf3504f3, v32
	v_fma_f32 v30, v30, 2.0, -v57
	v_fmac_f32_e32 v27, 0x3f3504f3, v31
	v_fma_f32 v28, v28, 2.0, -v53
	v_fma_f32 v41, v41, 2.0, -v54
	v_mov_b32_e32 v48, v30
	v_fma_f32 v29, v26, 2.0, -v27
	v_mov_b32_e32 v26, v28
	v_fmac_f32_e32 v45, 0x3f3504f3, v8
	v_mov_b32_e32 v46, v41
	v_fmac_f32_e32 v48, 0xbf3504f3, v11
	v_fmac_f32_e32 v26, 0xbf3504f3, v31
	;; [unrolled: 1-line block ×5, first 2 shown]
	v_fma_f32 v32, v33, 2.0, -v45
	v_fmac_f32_e32 v46, 0xbf3504f3, v11
	v_fma_f32 v52, v52, 2.0, -v37
	v_fma_f32 v37, v30, 2.0, -v48
	v_mov_b32_e32 v31, v32
	v_fma_f32 v36, v41, 2.0, -v46
	v_fmac_f32_e32 v31, 0xbf6c835e, v37
	v_fmac_f32_e32 v31, 0x3ec3ef15, v36
	v_sub_f32_e32 v63, v62, v18
	v_fma_f32 v18, v44, 2.0, -v35
	v_fma_f32 v33, v32, 2.0, -v31
	;; [unrolled: 1-line block ×3, first 2 shown]
	v_sub_f32_e32 v60, v59, v19
	v_sub_f32_e32 v35, v52, v18
	v_mov_b32_e32 v30, v32
	v_fma_f32 v19, v21, 2.0, -v34
	v_sub_f32_e32 v18, v63, v35
	v_fmac_f32_e32 v30, 0xbf6c835e, v36
	v_fma_f32 v36, v59, 2.0, -v60
	v_fma_f32 v35, v52, 2.0, -v35
	v_sub_f32_e32 v34, v61, v19
	v_sub_f32_e32 v35, v36, v35
	v_mov_b32_e32 v1, v55
	v_mov_b32_e32 v5, v43
	v_mov_b32_e32 v4, v53
	v_mov_b32_e32 v9, v45
	v_mov_b32_e32 v8, v50
	v_add_f32_e32 v19, v60, v34
	v_fmac_f32_e32 v30, 0xbec3ef15, v37
	v_fma_f32 v37, v36, 2.0, -v35
	v_fma_f32 v36, v62, 2.0, -v63
	;; [unrolled: 1-line block ×3, first 2 shown]
	v_fmac_f32_e32 v1, 0x3f6c835e, v58
	v_fmac_f32_e32 v5, 0x3f3504f3, v42
	;; [unrolled: 1-line block ×5, first 2 shown]
	v_sub_f32_e32 v34, v36, v34
	v_fmac_f32_e32 v1, 0x3ec3ef15, v56
	v_fmac_f32_e32 v5, 0x3f3504f3, v51
	;; [unrolled: 1-line block ×5, first 2 shown]
	v_fma_f32 v36, v36, 2.0, -v34
	v_fma_f32 v3, v55, 2.0, -v1
	;; [unrolled: 1-line block ×10, first 2 shown]
	ds_write_b64 v39, v[36:37]
	ds_write2_b64 v40, v[32:33], v[28:29] offset0:11 offset1:22
	ds_write2_b64 v40, v[24:25], v[20:21] offset0:33 offset1:44
	;; [unrolled: 1-line block ×7, first 2 shown]
	ds_write_b64 v40, v[0:1] offset:1320
.LBB0_17:
	s_or_b64 exec, exec, s[4:5]
	s_waitcnt lgkmcnt(0)
	; wave barrier
	s_waitcnt lgkmcnt(0)
	ds_read_b64 v[0:1], v39
	v_sub_u32_e32 v6, v38, v15
	v_cmp_ne_u32_e64 s[0:1], 0, v14
                                        ; implicit-def: $vgpr3
                                        ; implicit-def: $vgpr7
                                        ; implicit-def: $vgpr4_vgpr5
	s_and_saveexec_b64 s[4:5], s[0:1]
	s_xor_b64 s[4:5], exec, s[4:5]
	s_cbranch_execz .LBB0_19
; %bb.18:
	v_mov_b32_e32 v15, 0
	v_lshlrev_b64 v[2:3], 3, v[14:15]
	v_mov_b32_e32 v4, s13
	v_add_co_u32_e64 v2, s[0:1], s12, v2
	v_addc_co_u32_e64 v3, s[0:1], v4, v3, s[0:1]
	global_load_dwordx2 v[2:3], v[2:3], off offset:1320
	ds_read_b64 v[4:5], v6 offset:1408
	s_waitcnt lgkmcnt(0)
	v_add_f32_e32 v8, v4, v0
	v_sub_f32_e32 v0, v0, v4
	v_add_f32_e32 v7, v5, v1
	v_sub_f32_e32 v1, v1, v5
	v_mul_f32_e32 v0, 0.5, v0
	v_mul_f32_e32 v4, 0.5, v7
	;; [unrolled: 1-line block ×3, first 2 shown]
	s_waitcnt vmcnt(0)
	v_mul_f32_e32 v5, v3, v0
	v_fma_f32 v7, v4, v3, v1
	v_fma_f32 v1, v4, v3, -v1
	v_fma_f32 v9, 0.5, v8, v5
	v_fma_f32 v5, v8, 0.5, -v5
	v_fma_f32 v7, -v2, v0, v7
	v_fma_f32 v3, -v2, v0, v1
	v_fmac_f32_e32 v9, v2, v4
	v_fma_f32 v2, -v2, v4, v5
	v_mov_b32_e32 v4, v14
	ds_write_b32 v39, v9
	v_mov_b32_e32 v5, v15
                                        ; implicit-def: $vgpr0_vgpr1
.LBB0_19:
	s_andn2_saveexec_b64 s[0:1], s[4:5]
	s_cbranch_execz .LBB0_21
; %bb.20:
	ds_read_b32 v3, v38 offset:708
	s_waitcnt lgkmcnt(1)
	v_add_f32_e32 v7, v0, v1
	v_mov_b32_e32 v4, 0
	ds_write_b32 v39, v7
	v_mov_b32_e32 v7, 0
	v_sub_f32_e32 v2, v0, v1
	v_mov_b32_e32 v5, 0
	s_waitcnt lgkmcnt(1)
	v_xor_b32_e32 v0, 0x80000000, v3
	v_mov_b32_e32 v3, v7
	ds_write_b32 v38, v0 offset:708
.LBB0_21:
	s_or_b64 exec, exec, s[0:1]
	s_add_u32 s0, s12, 0x528
	s_waitcnt lgkmcnt(0)
	v_lshlrev_b64 v[0:1], 3, v[4:5]
	s_addc_u32 s1, s13, 0
	v_mov_b32_e32 v4, s1
	v_add_co_u32_e64 v0, s[0:1], s0, v0
	v_addc_co_u32_e64 v1, s[0:1], v4, v1, s[0:1]
	global_load_dwordx2 v[4:5], v[0:1], off offset:128
	global_load_dwordx2 v[8:9], v[0:1], off offset:256
	;; [unrolled: 1-line block ×3, first 2 shown]
	ds_write_b32 v39, v7 offset:4
	ds_write_b64 v6, v[2:3] offset:1408
	ds_read_b64 v[2:3], v39 offset:128
	ds_read_b64 v[18:19], v6 offset:1280
	global_load_dwordx2 v[20:21], v[0:1], off offset:512
	s_movk_i32 s0, 0x58
	s_waitcnt lgkmcnt(0)
	v_add_f32_e32 v7, v2, v18
	v_sub_f32_e32 v2, v2, v18
	v_add_f32_e32 v15, v3, v19
	v_sub_f32_e32 v3, v3, v19
	v_mul_f32_e32 v18, 0.5, v2
	v_mul_f32_e32 v15, 0.5, v15
	v_mul_f32_e32 v2, 0.5, v3
	s_waitcnt vmcnt(3)
	v_mul_f32_e32 v19, v5, v18
	v_fma_f32 v3, v15, v5, v2
	v_fma_f32 v5, v15, v5, -v2
	v_fma_f32 v2, 0.5, v7, v19
	v_fma_f32 v3, -v4, v18, v3
	v_fma_f32 v7, v7, 0.5, -v19
	v_fmac_f32_e32 v2, v4, v15
	v_fma_f32 v5, -v4, v18, v5
	v_fma_f32 v4, -v4, v15, v7
	ds_write_b64 v39, v[2:3] offset:128
	ds_write_b64 v6, v[4:5] offset:1280
	ds_read_b64 v[2:3], v39 offset:256
	ds_read_b64 v[4:5], v6 offset:1152
	s_waitcnt lgkmcnt(0)
	v_add_f32_e32 v7, v2, v4
	v_sub_f32_e32 v2, v2, v4
	v_add_f32_e32 v15, v3, v5
	v_sub_f32_e32 v3, v3, v5
	v_mul_f32_e32 v5, 0.5, v2
	v_mul_f32_e32 v4, 0.5, v15
	v_mul_f32_e32 v2, 0.5, v3
	s_waitcnt vmcnt(2)
	v_mul_f32_e32 v15, v9, v5
	v_fma_f32 v3, v4, v9, v2
	v_fma_f32 v9, v4, v9, -v2
	v_fma_f32 v2, 0.5, v7, v15
	v_fma_f32 v3, -v8, v5, v3
	v_fma_f32 v7, v7, 0.5, -v15
	v_fmac_f32_e32 v2, v8, v4
	v_fma_f32 v5, -v8, v5, v9
	v_fma_f32 v4, -v8, v4, v7
	ds_write_b64 v39, v[2:3] offset:256
	ds_write_b64 v6, v[4:5] offset:1152
	ds_read_b64 v[2:3], v39 offset:384
	ds_read_b64 v[4:5], v6 offset:1024
	;; [unrolled: 22-line block ×3, first 2 shown]
	v_or_b32_e32 v7, 0x50, v14
	v_cmp_gt_u32_e64 s[0:1], s0, v7
	s_waitcnt lgkmcnt(0)
	v_add_f32_e32 v8, v2, v4
	v_sub_f32_e32 v2, v2, v4
	v_add_f32_e32 v9, v3, v5
	v_sub_f32_e32 v3, v3, v5
	v_mul_f32_e32 v5, 0.5, v2
	v_mul_f32_e32 v4, 0.5, v9
	;; [unrolled: 1-line block ×3, first 2 shown]
	s_waitcnt vmcnt(0)
	v_mul_f32_e32 v9, v21, v5
	v_fma_f32 v3, v4, v21, v2
	v_fma_f32 v10, v4, v21, -v2
	v_fma_f32 v2, 0.5, v8, v9
	v_fma_f32 v3, -v20, v5, v3
	v_fma_f32 v8, v8, 0.5, -v9
	v_fmac_f32_e32 v2, v20, v4
	v_fma_f32 v5, -v20, v5, v10
	v_fma_f32 v4, -v20, v4, v8
	ds_write_b64 v39, v[2:3] offset:512
	ds_write_b64 v6, v[4:5] offset:896
	s_and_saveexec_b64 s[4:5], s[0:1]
	s_cbranch_execz .LBB0_23
; %bb.22:
	global_load_dwordx2 v[0:1], v[0:1], off offset:640
	ds_read_b64 v[2:3], v39 offset:640
	ds_read_b64 v[4:5], v6 offset:768
	s_waitcnt lgkmcnt(0)
	v_add_f32_e32 v7, v2, v4
	v_sub_f32_e32 v2, v2, v4
	v_add_f32_e32 v8, v3, v5
	v_sub_f32_e32 v3, v3, v5
	v_mul_f32_e32 v4, 0.5, v2
	v_mul_f32_e32 v5, 0.5, v8
	;; [unrolled: 1-line block ×3, first 2 shown]
	s_waitcnt vmcnt(0)
	v_mul_f32_e32 v3, v1, v4
	v_fma_f32 v8, v5, v1, v2
	v_fma_f32 v9, v5, v1, -v2
	v_fma_f32 v1, 0.5, v7, v3
	v_fma_f32 v2, -v0, v4, v8
	v_fma_f32 v3, v7, 0.5, -v3
	v_fmac_f32_e32 v1, v0, v5
	v_fma_f32 v4, -v0, v4, v9
	v_fma_f32 v3, -v0, v5, v3
	ds_write_b64 v39, v[1:2] offset:640
	ds_write_b64 v6, v[3:4] offset:768
.LBB0_23:
	s_or_b64 exec, exec, s[4:5]
	s_waitcnt lgkmcnt(0)
	; wave barrier
	s_waitcnt lgkmcnt(0)
	s_and_saveexec_b64 s[0:1], vcc
	s_cbranch_execz .LBB0_26
; %bb.24:
	v_mul_lo_u32 v2, s3, v16
	v_mul_lo_u32 v3, s2, v17
	v_mad_u64_u32 v[0:1], s[0:1], s2, v16, 0
	v_mov_b32_e32 v7, s11
	v_mov_b32_e32 v15, 0
	v_add3_u32 v1, v1, v3, v2
	v_lshlrev_b64 v[0:1], 3, v[0:1]
	v_lshl_add_u32 v2, v14, 3, v38
	v_add_co_u32_e32 v8, vcc, s10, v0
	v_addc_co_u32_e32 v7, vcc, v7, v1, vcc
	v_lshlrev_b64 v[0:1], 3, v[12:13]
	ds_read2_b64 v[3:6], v2 offset1:16
	v_add_co_u32_e32 v0, vcc, v8, v0
	v_addc_co_u32_e32 v1, vcc, v7, v1, vcc
	v_lshlrev_b64 v[7:8], 3, v[14:15]
	v_add_co_u32_e32 v7, vcc, v0, v7
	v_addc_co_u32_e32 v8, vcc, v1, v8, vcc
	s_waitcnt lgkmcnt(0)
	global_store_dwordx2 v[7:8], v[3:4], off
	v_add_u32_e32 v3, 16, v14
	v_mov_b32_e32 v4, v15
	v_lshlrev_b64 v[3:4], 3, v[3:4]
	v_add_u32_e32 v7, 32, v14
	v_add_co_u32_e32 v3, vcc, v0, v3
	v_addc_co_u32_e32 v4, vcc, v1, v4, vcc
	global_store_dwordx2 v[3:4], v[5:6], off
	v_mov_b32_e32 v8, v15
	ds_read2_b64 v[3:6], v2 offset0:32 offset1:48
	v_lshlrev_b64 v[7:8], 3, v[7:8]
	v_add_co_u32_e32 v7, vcc, v0, v7
	v_addc_co_u32_e32 v8, vcc, v1, v8, vcc
	s_waitcnt lgkmcnt(0)
	global_store_dwordx2 v[7:8], v[3:4], off
	v_add_u32_e32 v3, 48, v14
	v_mov_b32_e32 v4, v15
	v_lshlrev_b64 v[3:4], 3, v[3:4]
	v_add_u32_e32 v7, 64, v14
	v_add_co_u32_e32 v3, vcc, v0, v3
	v_addc_co_u32_e32 v4, vcc, v1, v4, vcc
	global_store_dwordx2 v[3:4], v[5:6], off
	v_mov_b32_e32 v8, v15
	ds_read2_b64 v[3:6], v2 offset0:64 offset1:80
	;; [unrolled: 14-line block ×4, first 2 shown]
	v_lshlrev_b64 v[7:8], 3, v[7:8]
	v_add_co_u32_e32 v7, vcc, v0, v7
	v_addc_co_u32_e32 v8, vcc, v1, v8, vcc
	s_waitcnt lgkmcnt(0)
	global_store_dwordx2 v[7:8], v[3:4], off
	v_add_u32_e32 v3, 0x90, v14
	v_mov_b32_e32 v4, v15
	v_lshlrev_b64 v[3:4], 3, v[3:4]
	v_add_co_u32_e32 v3, vcc, v0, v3
	v_addc_co_u32_e32 v4, vcc, v1, v4, vcc
	global_store_dwordx2 v[3:4], v[5:6], off
	v_add_u32_e32 v3, 0xa0, v14
	v_mov_b32_e32 v4, v15
	ds_read_b64 v[5:6], v2 offset:1280
	v_lshlrev_b64 v[3:4], 3, v[3:4]
	v_add_co_u32_e32 v3, vcc, v0, v3
	v_addc_co_u32_e32 v4, vcc, v1, v4, vcc
	v_cmp_eq_u32_e32 vcc, 15, v14
	s_waitcnt lgkmcnt(0)
	global_store_dwordx2 v[3:4], v[5:6], off
	s_and_b64 exec, exec, vcc
	s_cbranch_execz .LBB0_26
; %bb.25:
	ds_read_b64 v[2:3], v2 offset:1288
	s_waitcnt lgkmcnt(0)
	global_store_dwordx2 v[0:1], v[2:3], off offset:1408
.LBB0_26:
	s_endpgm
	.section	.rodata,"a",@progbits
	.p2align	6, 0x0
	.amdhsa_kernel fft_rtc_fwd_len176_factors_11_16_wgs_64_tpt_16_halfLds_sp_op_CI_CI_unitstride_sbrr_R2C_dirReg
		.amdhsa_group_segment_fixed_size 0
		.amdhsa_private_segment_fixed_size 0
		.amdhsa_kernarg_size 104
		.amdhsa_user_sgpr_count 6
		.amdhsa_user_sgpr_private_segment_buffer 1
		.amdhsa_user_sgpr_dispatch_ptr 0
		.amdhsa_user_sgpr_queue_ptr 0
		.amdhsa_user_sgpr_kernarg_segment_ptr 1
		.amdhsa_user_sgpr_dispatch_id 0
		.amdhsa_user_sgpr_flat_scratch_init 0
		.amdhsa_user_sgpr_private_segment_size 0
		.amdhsa_uses_dynamic_stack 0
		.amdhsa_system_sgpr_private_segment_wavefront_offset 0
		.amdhsa_system_sgpr_workgroup_id_x 1
		.amdhsa_system_sgpr_workgroup_id_y 0
		.amdhsa_system_sgpr_workgroup_id_z 0
		.amdhsa_system_sgpr_workgroup_info 0
		.amdhsa_system_vgpr_workitem_id 0
		.amdhsa_next_free_vgpr 64
		.amdhsa_next_free_sgpr 28
		.amdhsa_reserve_vcc 1
		.amdhsa_reserve_flat_scratch 0
		.amdhsa_float_round_mode_32 0
		.amdhsa_float_round_mode_16_64 0
		.amdhsa_float_denorm_mode_32 3
		.amdhsa_float_denorm_mode_16_64 3
		.amdhsa_dx10_clamp 1
		.amdhsa_ieee_mode 1
		.amdhsa_fp16_overflow 0
		.amdhsa_exception_fp_ieee_invalid_op 0
		.amdhsa_exception_fp_denorm_src 0
		.amdhsa_exception_fp_ieee_div_zero 0
		.amdhsa_exception_fp_ieee_overflow 0
		.amdhsa_exception_fp_ieee_underflow 0
		.amdhsa_exception_fp_ieee_inexact 0
		.amdhsa_exception_int_div_zero 0
	.end_amdhsa_kernel
	.text
.Lfunc_end0:
	.size	fft_rtc_fwd_len176_factors_11_16_wgs_64_tpt_16_halfLds_sp_op_CI_CI_unitstride_sbrr_R2C_dirReg, .Lfunc_end0-fft_rtc_fwd_len176_factors_11_16_wgs_64_tpt_16_halfLds_sp_op_CI_CI_unitstride_sbrr_R2C_dirReg
                                        ; -- End function
	.section	.AMDGPU.csdata,"",@progbits
; Kernel info:
; codeLenInByte = 6932
; NumSgprs: 32
; NumVgprs: 64
; ScratchSize: 0
; MemoryBound: 0
; FloatMode: 240
; IeeeMode: 1
; LDSByteSize: 0 bytes/workgroup (compile time only)
; SGPRBlocks: 3
; VGPRBlocks: 15
; NumSGPRsForWavesPerEU: 32
; NumVGPRsForWavesPerEU: 64
; Occupancy: 4
; WaveLimiterHint : 1
; COMPUTE_PGM_RSRC2:SCRATCH_EN: 0
; COMPUTE_PGM_RSRC2:USER_SGPR: 6
; COMPUTE_PGM_RSRC2:TRAP_HANDLER: 0
; COMPUTE_PGM_RSRC2:TGID_X_EN: 1
; COMPUTE_PGM_RSRC2:TGID_Y_EN: 0
; COMPUTE_PGM_RSRC2:TGID_Z_EN: 0
; COMPUTE_PGM_RSRC2:TIDIG_COMP_CNT: 0
	.type	__hip_cuid_ff5eb06d69d861c4,@object ; @__hip_cuid_ff5eb06d69d861c4
	.section	.bss,"aw",@nobits
	.globl	__hip_cuid_ff5eb06d69d861c4
__hip_cuid_ff5eb06d69d861c4:
	.byte	0                               ; 0x0
	.size	__hip_cuid_ff5eb06d69d861c4, 1

	.ident	"AMD clang version 19.0.0git (https://github.com/RadeonOpenCompute/llvm-project roc-6.4.0 25133 c7fe45cf4b819c5991fe208aaa96edf142730f1d)"
	.section	".note.GNU-stack","",@progbits
	.addrsig
	.addrsig_sym __hip_cuid_ff5eb06d69d861c4
	.amdgpu_metadata
---
amdhsa.kernels:
  - .args:
      - .actual_access:  read_only
        .address_space:  global
        .offset:         0
        .size:           8
        .value_kind:     global_buffer
      - .offset:         8
        .size:           8
        .value_kind:     by_value
      - .actual_access:  read_only
        .address_space:  global
        .offset:         16
        .size:           8
        .value_kind:     global_buffer
      - .actual_access:  read_only
        .address_space:  global
        .offset:         24
        .size:           8
        .value_kind:     global_buffer
      - .actual_access:  read_only
        .address_space:  global
        .offset:         32
        .size:           8
        .value_kind:     global_buffer
      - .offset:         40
        .size:           8
        .value_kind:     by_value
      - .actual_access:  read_only
        .address_space:  global
        .offset:         48
        .size:           8
        .value_kind:     global_buffer
      - .actual_access:  read_only
        .address_space:  global
        .offset:         56
        .size:           8
        .value_kind:     global_buffer
      - .offset:         64
        .size:           4
        .value_kind:     by_value
      - .actual_access:  read_only
        .address_space:  global
        .offset:         72
        .size:           8
        .value_kind:     global_buffer
      - .actual_access:  read_only
        .address_space:  global
        .offset:         80
        .size:           8
        .value_kind:     global_buffer
      - .actual_access:  read_only
        .address_space:  global
        .offset:         88
        .size:           8
        .value_kind:     global_buffer
      - .actual_access:  write_only
        .address_space:  global
        .offset:         96
        .size:           8
        .value_kind:     global_buffer
    .group_segment_fixed_size: 0
    .kernarg_segment_align: 8
    .kernarg_segment_size: 104
    .language:       OpenCL C
    .language_version:
      - 2
      - 0
    .max_flat_workgroup_size: 64
    .name:           fft_rtc_fwd_len176_factors_11_16_wgs_64_tpt_16_halfLds_sp_op_CI_CI_unitstride_sbrr_R2C_dirReg
    .private_segment_fixed_size: 0
    .sgpr_count:     32
    .sgpr_spill_count: 0
    .symbol:         fft_rtc_fwd_len176_factors_11_16_wgs_64_tpt_16_halfLds_sp_op_CI_CI_unitstride_sbrr_R2C_dirReg.kd
    .uniform_work_group_size: 1
    .uses_dynamic_stack: false
    .vgpr_count:     64
    .vgpr_spill_count: 0
    .wavefront_size: 64
amdhsa.target:   amdgcn-amd-amdhsa--gfx906
amdhsa.version:
  - 1
  - 2
...

	.end_amdgpu_metadata
